;; amdgpu-corpus repo=ROCm/rocFFT kind=compiled arch=gfx950 opt=O3
	.text
	.amdgcn_target "amdgcn-amd-amdhsa--gfx950"
	.amdhsa_code_object_version 6
	.protected	fft_rtc_back_len1470_factors_2_3_5_7_7_wgs_210_tpt_210_halfLds_sp_ip_CI_unitstride_sbrr_dirReg ; -- Begin function fft_rtc_back_len1470_factors_2_3_5_7_7_wgs_210_tpt_210_halfLds_sp_ip_CI_unitstride_sbrr_dirReg
	.globl	fft_rtc_back_len1470_factors_2_3_5_7_7_wgs_210_tpt_210_halfLds_sp_ip_CI_unitstride_sbrr_dirReg
	.p2align	8
	.type	fft_rtc_back_len1470_factors_2_3_5_7_7_wgs_210_tpt_210_halfLds_sp_ip_CI_unitstride_sbrr_dirReg,@function
fft_rtc_back_len1470_factors_2_3_5_7_7_wgs_210_tpt_210_halfLds_sp_ip_CI_unitstride_sbrr_dirReg: ; @fft_rtc_back_len1470_factors_2_3_5_7_7_wgs_210_tpt_210_halfLds_sp_ip_CI_unitstride_sbrr_dirReg
; %bb.0:
	s_load_dwordx2 s[4:5], s[0:1], 0x50
	s_load_dwordx4 s[8:11], s[0:1], 0x0
	s_load_dwordx2 s[6:7], s[0:1], 0x18
	v_mul_u32_u24_e32 v1, 0x139, v0
	v_add_u32_sdwa v6, s2, v1 dst_sel:DWORD dst_unused:UNUSED_PAD src0_sel:DWORD src1_sel:WORD_1
	v_mov_b32_e32 v4, 0
	s_waitcnt lgkmcnt(0)
	v_cmp_lt_u64_e64 s[2:3], s[10:11], 2
	v_mov_b32_e32 v7, v4
	s_and_b64 vcc, exec, s[2:3]
	v_mov_b64_e32 v[2:3], 0
	s_cbranch_vccnz .LBB0_8
; %bb.1:
	s_load_dwordx2 s[2:3], s[0:1], 0x10
	s_add_u32 s12, s6, 8
	s_addc_u32 s13, s7, 0
	s_mov_b64 s[14:15], 1
	v_mov_b64_e32 v[2:3], 0
	s_waitcnt lgkmcnt(0)
	s_add_u32 s16, s2, 8
	s_addc_u32 s17, s3, 0
.LBB0_2:                                ; =>This Inner Loop Header: Depth=1
	s_load_dwordx2 s[18:19], s[16:17], 0x0
                                        ; implicit-def: $vgpr8_vgpr9
	s_waitcnt lgkmcnt(0)
	v_or_b32_e32 v5, s19, v7
	v_cmp_ne_u64_e32 vcc, 0, v[4:5]
	s_and_saveexec_b64 s[2:3], vcc
	s_xor_b64 s[20:21], exec, s[2:3]
	s_cbranch_execz .LBB0_4
; %bb.3:                                ;   in Loop: Header=BB0_2 Depth=1
	v_cvt_f32_u32_e32 v1, s18
	v_cvt_f32_u32_e32 v5, s19
	s_sub_u32 s2, 0, s18
	s_subb_u32 s3, 0, s19
	v_fmac_f32_e32 v1, 0x4f800000, v5
	v_rcp_f32_e32 v1, v1
	s_nop 0
	v_mul_f32_e32 v1, 0x5f7ffffc, v1
	v_mul_f32_e32 v5, 0x2f800000, v1
	v_trunc_f32_e32 v5, v5
	v_fmac_f32_e32 v1, 0xcf800000, v5
	v_cvt_u32_f32_e32 v5, v5
	v_cvt_u32_f32_e32 v1, v1
	v_mul_lo_u32 v8, s2, v5
	v_mul_hi_u32 v10, s2, v1
	v_mul_lo_u32 v9, s3, v1
	v_add_u32_e32 v10, v10, v8
	v_mul_lo_u32 v12, s2, v1
	v_add_u32_e32 v13, v10, v9
	v_mul_hi_u32 v8, v1, v12
	v_mul_hi_u32 v11, v1, v13
	v_mul_lo_u32 v10, v1, v13
	v_mov_b32_e32 v9, v4
	v_lshl_add_u64 v[8:9], v[8:9], 0, v[10:11]
	v_mul_hi_u32 v11, v5, v12
	v_mul_lo_u32 v12, v5, v12
	v_add_co_u32_e32 v8, vcc, v8, v12
	v_mul_hi_u32 v10, v5, v13
	s_nop 0
	v_addc_co_u32_e32 v8, vcc, v9, v11, vcc
	v_mov_b32_e32 v9, v4
	s_nop 0
	v_addc_co_u32_e32 v11, vcc, 0, v10, vcc
	v_mul_lo_u32 v10, v5, v13
	v_lshl_add_u64 v[8:9], v[8:9], 0, v[10:11]
	v_add_co_u32_e32 v1, vcc, v1, v8
	v_mul_lo_u32 v10, s2, v1
	s_nop 0
	v_addc_co_u32_e32 v5, vcc, v5, v9, vcc
	v_mul_lo_u32 v8, s2, v5
	v_mul_hi_u32 v9, s2, v1
	v_add_u32_e32 v8, v9, v8
	v_mul_lo_u32 v9, s3, v1
	v_add_u32_e32 v12, v8, v9
	v_mul_hi_u32 v14, v5, v10
	v_mul_lo_u32 v15, v5, v10
	v_mul_hi_u32 v9, v1, v12
	v_mul_lo_u32 v8, v1, v12
	v_mul_hi_u32 v10, v1, v10
	v_mov_b32_e32 v11, v4
	v_lshl_add_u64 v[8:9], v[10:11], 0, v[8:9]
	v_add_co_u32_e32 v8, vcc, v8, v15
	v_mul_hi_u32 v13, v5, v12
	s_nop 0
	v_addc_co_u32_e32 v8, vcc, v9, v14, vcc
	v_mul_lo_u32 v10, v5, v12
	s_nop 0
	v_addc_co_u32_e32 v11, vcc, 0, v13, vcc
	v_mov_b32_e32 v9, v4
	v_lshl_add_u64 v[8:9], v[8:9], 0, v[10:11]
	v_add_co_u32_e32 v1, vcc, v1, v8
	v_mul_hi_u32 v10, v6, v1
	s_nop 0
	v_addc_co_u32_e32 v5, vcc, v5, v9, vcc
	v_mad_u64_u32 v[8:9], s[2:3], v6, v5, 0
	v_mov_b32_e32 v11, v4
	v_lshl_add_u64 v[8:9], v[10:11], 0, v[8:9]
	v_mad_u64_u32 v[12:13], s[2:3], v7, v1, 0
	v_add_co_u32_e32 v1, vcc, v8, v12
	v_mad_u64_u32 v[10:11], s[2:3], v7, v5, 0
	s_nop 0
	v_addc_co_u32_e32 v8, vcc, v9, v13, vcc
	v_mov_b32_e32 v9, v4
	s_nop 0
	v_addc_co_u32_e32 v11, vcc, 0, v11, vcc
	v_lshl_add_u64 v[8:9], v[8:9], 0, v[10:11]
	v_mul_lo_u32 v1, s19, v8
	v_mul_lo_u32 v5, s18, v9
	v_mad_u64_u32 v[10:11], s[2:3], s18, v8, 0
	v_add3_u32 v1, v11, v5, v1
	v_sub_u32_e32 v5, v7, v1
	v_mov_b32_e32 v11, s19
	v_sub_co_u32_e32 v14, vcc, v6, v10
	v_lshl_add_u64 v[12:13], v[8:9], 0, 1
	s_nop 0
	v_subb_co_u32_e64 v5, s[2:3], v5, v11, vcc
	v_subrev_co_u32_e64 v10, s[2:3], s18, v14
	v_subb_co_u32_e32 v1, vcc, v7, v1, vcc
	s_nop 0
	v_subbrev_co_u32_e64 v5, s[2:3], 0, v5, s[2:3]
	v_cmp_le_u32_e64 s[2:3], s19, v5
	v_cmp_le_u32_e32 vcc, s19, v1
	s_nop 0
	v_cndmask_b32_e64 v11, 0, -1, s[2:3]
	v_cmp_le_u32_e64 s[2:3], s18, v10
	s_nop 1
	v_cndmask_b32_e64 v10, 0, -1, s[2:3]
	v_cmp_eq_u32_e64 s[2:3], s19, v5
	s_nop 1
	v_cndmask_b32_e64 v5, v11, v10, s[2:3]
	v_lshl_add_u64 v[10:11], v[8:9], 0, 2
	v_cmp_ne_u32_e64 s[2:3], 0, v5
	s_nop 1
	v_cndmask_b32_e64 v5, v13, v11, s[2:3]
	v_cndmask_b32_e64 v11, 0, -1, vcc
	v_cmp_le_u32_e32 vcc, s18, v14
	s_nop 1
	v_cndmask_b32_e64 v13, 0, -1, vcc
	v_cmp_eq_u32_e32 vcc, s19, v1
	s_nop 1
	v_cndmask_b32_e32 v1, v11, v13, vcc
	v_cmp_ne_u32_e32 vcc, 0, v1
	v_cndmask_b32_e64 v1, v12, v10, s[2:3]
	s_nop 0
	v_cndmask_b32_e32 v9, v9, v5, vcc
	v_cndmask_b32_e32 v8, v8, v1, vcc
.LBB0_4:                                ;   in Loop: Header=BB0_2 Depth=1
	s_andn2_saveexec_b64 s[2:3], s[20:21]
	s_cbranch_execz .LBB0_6
; %bb.5:                                ;   in Loop: Header=BB0_2 Depth=1
	v_cvt_f32_u32_e32 v1, s18
	s_sub_i32 s20, 0, s18
	v_rcp_iflag_f32_e32 v1, v1
	s_nop 0
	v_mul_f32_e32 v1, 0x4f7ffffe, v1
	v_cvt_u32_f32_e32 v1, v1
	v_mul_lo_u32 v5, s20, v1
	v_mul_hi_u32 v5, v1, v5
	v_add_u32_e32 v1, v1, v5
	v_mul_hi_u32 v1, v6, v1
	v_mul_lo_u32 v5, v1, s18
	v_sub_u32_e32 v5, v6, v5
	v_add_u32_e32 v8, 1, v1
	v_subrev_u32_e32 v9, s18, v5
	v_cmp_le_u32_e32 vcc, s18, v5
	s_nop 1
	v_cndmask_b32_e32 v5, v5, v9, vcc
	v_cndmask_b32_e32 v1, v1, v8, vcc
	v_add_u32_e32 v8, 1, v1
	v_cmp_le_u32_e32 vcc, s18, v5
	v_mov_b32_e32 v9, v4
	s_nop 0
	v_cndmask_b32_e32 v8, v1, v8, vcc
.LBB0_6:                                ;   in Loop: Header=BB0_2 Depth=1
	s_or_b64 exec, exec, s[2:3]
	v_mad_u64_u32 v[10:11], s[2:3], v8, s18, 0
	s_load_dwordx2 s[2:3], s[12:13], 0x0
	v_mul_lo_u32 v1, v9, s18
	v_mul_lo_u32 v5, v8, s19
	v_add3_u32 v1, v11, v5, v1
	v_sub_co_u32_e32 v5, vcc, v6, v10
	s_add_u32 s14, s14, 1
	s_nop 0
	v_subb_co_u32_e32 v1, vcc, v7, v1, vcc
	s_addc_u32 s15, s15, 0
	s_waitcnt lgkmcnt(0)
	v_mul_lo_u32 v1, s2, v1
	v_mul_lo_u32 v6, s3, v5
	v_mad_u64_u32 v[2:3], s[2:3], s2, v5, v[2:3]
	s_add_u32 s12, s12, 8
	v_add3_u32 v3, v6, v3, v1
	s_addc_u32 s13, s13, 0
	v_mov_b64_e32 v[6:7], s[10:11]
	s_add_u32 s16, s16, 8
	v_cmp_ge_u64_e32 vcc, s[14:15], v[6:7]
	s_addc_u32 s17, s17, 0
	s_cbranch_vccnz .LBB0_9
; %bb.7:                                ;   in Loop: Header=BB0_2 Depth=1
	v_mov_b64_e32 v[6:7], v[8:9]
	s_branch .LBB0_2
.LBB0_8:
	v_mov_b64_e32 v[8:9], v[6:7]
.LBB0_9:
	s_lshl_b64 s[2:3], s[10:11], 3
	s_add_u32 s2, s6, s2
	s_addc_u32 s3, s7, s3
	s_load_dwordx2 s[6:7], s[2:3], 0x0
	s_load_dwordx2 s[10:11], s[0:1], 0x20
	s_mov_b32 s2, 0x1381382
	v_mov_b32_e32 v28, 0
	v_mov_b32_e32 v29, v28
	s_waitcnt lgkmcnt(0)
	v_mul_lo_u32 v1, s6, v9
	v_mul_lo_u32 v4, s7, v8
	v_mad_u64_u32 v[6:7], s[0:1], s6, v8, v[2:3]
	v_add3_u32 v7, v4, v7, v1
	v_mul_hi_u32 v1, v0, s2
	v_mul_u32_u24_e32 v1, 0xd2, v1
	v_cmp_gt_u64_e64 s[0:1], s[10:11], v[8:9]
	v_sub_u32_e32 v4, v0, v1
	v_mov_b32_e32 v2, 0
	v_lshl_add_u64 v[0:1], v[6:7], 3, s[4:5]
                                        ; implicit-def: $vgpr14
                                        ; implicit-def: $vgpr16
                                        ; implicit-def: $vgpr6
                                        ; implicit-def: $vgpr8
                                        ; implicit-def: $vgpr24
                                        ; implicit-def: $vgpr22
                                        ; implicit-def: $vgpr26
	s_and_saveexec_b64 s[2:3], s[0:1]
	s_cbranch_execz .LBB0_13
; %bb.10:
	v_mov_b32_e32 v5, 0
	v_lshl_add_u64 v[2:3], v[4:5], 3, v[0:1]
	v_add_co_u32_e32 v6, vcc, 0x1000, v2
	s_movk_i32 s4, 0x69
	s_nop 0
	v_addc_co_u32_e32 v7, vcc, 0, v3, vcc
	global_load_dwordx2 v[8:9], v[2:3], off
	global_load_dwordx2 v[22:23], v[2:3], off offset:1680
	global_load_dwordx2 v[24:25], v[6:7], off offset:1784
	;; [unrolled: 1-line block ×3, first 2 shown]
	v_add_co_u32_e32 v10, vcc, 0x2000, v2
	v_mov_b32_e32 v28, v5
	s_nop 0
	v_addc_co_u32_e32 v11, vcc, 0, v3, vcc
	global_load_dwordx2 v[16:17], v[6:7], off offset:3464
	global_load_dwordx2 v[14:15], v[10:11], off offset:1048
	v_cmp_gt_u32_e32 vcc, s4, v4
                                        ; implicit-def: $vgpr7
	s_and_saveexec_b64 s[4:5], vcc
	s_cbranch_execz .LBB0_12
; %bb.11:
	v_add_co_u32_e32 v10, vcc, 0x1000, v2
	s_nop 1
	v_addc_co_u32_e32 v11, vcc, 0, v3, vcc
	v_add_co_u32_e32 v2, vcc, 0x2000, v2
	s_nop 1
	v_addc_co_u32_e32 v3, vcc, 0, v3, vcc
	global_load_dwordx2 v[28:29], v[10:11], off offset:944
	global_load_dwordx2 v[6:7], v[2:3], off offset:2728
	s_waitcnt vmcnt(1)
	v_mov_b32_e32 v5, v29
.LBB0_12:
	s_or_b64 exec, exec, s[4:5]
	v_mov_b32_e32 v2, v4
	v_mov_b32_e32 v29, v5
.LBB0_13:
	s_or_b64 exec, exec, s[2:3]
	s_waitcnt vmcnt(3)
	v_sub_f32_e32 v13, v8, v24
	v_fma_f32 v12, v8, 2.0, -v13
	s_waitcnt vmcnt(1)
	v_sub_f32_e32 v19, v22, v16
	s_waitcnt vmcnt(0)
	v_sub_f32_e32 v21, v26, v14
	v_pk_add_f32 v[10:11], v[28:29], v[6:7] neg_lo:[0,1] neg_hi:[0,1]
	v_add_u32_e32 v5, 0xd2, v4
	v_add_u32_e32 v8, 0x1a4, v4
	;; [unrolled: 1-line block ×3, first 2 shown]
	s_movk_i32 s2, 0x69
	v_fma_f32 v18, v22, 2.0, -v19
	v_fma_f32 v20, v26, 2.0, -v21
	;; [unrolled: 1-line block ×3, first 2 shown]
	v_lshl_add_u32 v14, v4, 3, 0
	v_lshl_add_u32 v22, v5, 3, 0
	v_lshl_add_u32 v26, v8, 3, 0
	v_cmp_gt_u32_e32 vcc, s2, v4
	v_lshl_add_u32 v24, v3, 3, 0
	ds_write_b64 v14, v[12:13]
	ds_write_b64 v22, v[18:19]
	;; [unrolled: 1-line block ×3, first 2 shown]
	s_and_saveexec_b64 s[2:3], vcc
	s_cbranch_execz .LBB0_15
; %bb.14:
	v_mov_b32_e32 v7, v10
	ds_write_b64 v24, v[6:7]
.LBB0_15:
	s_or_b64 exec, exec, s[2:3]
	v_lshlrev_b32_e32 v3, 2, v4
	v_sub_u32_e32 v7, 0, v3
	v_sub_u32_e32 v3, v14, v3
	s_waitcnt lgkmcnt(0)
	s_barrier
	ds_read2_b32 v[12:13], v3 offset1:210
	v_add_u32_e32 v16, 0x700, v3
	v_add_u32_e32 v3, 0xf00, v3
	ds_read2_b32 v[18:19], v16 offset0:42 offset1:252
	ds_read2_b32 v[20:21], v3 offset0:20 offset1:230
	s_movk_i32 s2, 0x45
	s_movk_i32 s4, 0x46
	v_cmp_lt_u32_e64 s[2:3], s2, v4
	v_cmp_gt_u32_e64 s[4:5], s4, v4
	v_add_u32_e32 v3, v14, v7
                                        ; implicit-def: $vgpr16
	s_and_saveexec_b64 s[6:7], s[4:5]
	s_cbranch_execz .LBB0_17
; %bb.16:
	ds_read_b32 v6, v3 offset:1680
	ds_read_b32 v10, v3 offset:3640
	;; [unrolled: 1-line block ×3, first 2 shown]
.LBB0_17:
	s_or_b64 exec, exec, s[6:7]
	v_sub_f32_e32 v31, v9, v25
	v_fma_f32 v30, v9, 2.0, -v31
	v_sub_f32_e32 v33, v23, v17
	v_sub_f32_e32 v35, v27, v15
	v_fma_f32 v9, v29, 2.0, -v11
	v_fma_f32 v32, v23, 2.0, -v33
	;; [unrolled: 1-line block ×3, first 2 shown]
	s_waitcnt lgkmcnt(0)
	s_barrier
	ds_write_b64 v14, v[30:31]
	ds_write_b64 v22, v[32:33]
	;; [unrolled: 1-line block ×3, first 2 shown]
	s_and_saveexec_b64 s[6:7], vcc
	s_cbranch_execz .LBB0_19
; %bb.18:
	v_mov_b32_e32 v14, v9
	v_mov_b32_e32 v15, v11
	ds_write_b64 v24, v[14:15]
.LBB0_19:
	s_or_b64 exec, exec, s[6:7]
	v_add_u32_e32 v7, 0x700, v3
	s_waitcnt lgkmcnt(0)
	s_barrier
	ds_read2_b32 v[22:23], v7 offset0:42 offset1:252
	v_add_u32_e32 v7, 0xf00, v3
	ds_read2_b32 v[14:15], v3 offset1:210
	ds_read2_b32 v[24:25], v7 offset0:20 offset1:230
                                        ; implicit-def: $vgpr26
	s_and_saveexec_b64 s[6:7], s[4:5]
	s_cbranch_execz .LBB0_21
; %bb.20:
	ds_read_b32 v9, v3 offset:1680
	ds_read_b32 v11, v3 offset:3640
	;; [unrolled: 1-line block ×3, first 2 shown]
.LBB0_21:
	s_or_b64 exec, exec, s[6:7]
	v_and_b32_e32 v28, 1, v4
	v_lshlrev_b32_e32 v7, 4, v28
	global_load_dwordx4 v[36:39], v7, s[8:9]
	v_mov_b32_e32 v17, v21
	v_mov_b32_e32 v40, v21
	v_lshrrev_b32_e32 v21, 1, v4
	v_mul_u32_u24_e32 v21, 6, v21
	v_or_b32_e32 v21, v21, v28
	v_mov_b32_e32 v34, v19
	s_waitcnt lgkmcnt(1)
	v_mov_b32_e32 v35, v11
	s_waitcnt lgkmcnt(0)
	v_mov_b32_e32 v41, v26
	v_lshl_add_u32 v30, v21, 2, 0
	v_mov_b32_e32 v27, v25
	v_mov_b32_e32 v7, v13
	s_mov_b32 s4, 0x3f5db3d7
	v_lshrrev_b32_e32 v29, 1, v5
	s_barrier
	v_mul_u32_u24_e32 v29, 6, v29
	v_or_b32_e32 v29, v29, v28
	v_lshl_add_u32 v29, v29, 2, 0
	s_waitcnt vmcnt(0)
	v_mul_f32_e32 v31, v22, v37
	v_mul_f32_e32 v21, v18, v37
	;; [unrolled: 1-line block ×5, first 2 shown]
	v_pk_mul_f32 v[42:43], v[34:35], v[36:37]
	v_mul_f32_e32 v45, v10, v37
	v_pk_mul_f32 v[40:41], v[40:41], v[38:39]
	v_mov_b32_e32 v44, v39
	v_fmac_f32_e32 v31, v18, v36
	v_fma_f32 v34, v22, v36, -v21
	v_fma_f32 v35, v24, v38, -v33
	v_mov_b32_e32 v22, v10
	v_mov_b32_e32 v24, v16
	v_fmac_f32_e32 v32, v20, v38
	v_fma_f32 v19, v23, v36, -v19
	v_pk_mul_f32 v[16:17], v[16:17], v[44:45] op_sel_hi:[1,0]
	v_pk_fma_f32 v[20:21], v[22:23], v[36:37], v[42:43] op_sel:[0,0,1] op_sel_hi:[1,1,0]
	v_pk_fma_f32 v[22:23], v[24:25], v[38:39], v[40:41] op_sel:[0,0,1] op_sel_hi:[1,1,0]
	v_add_f32_e32 v10, v12, v31
	v_mul_f32_e32 v11, v11, v36
	v_add_f32_e32 v18, v31, v32
	v_pk_fma_f32 v[16:17], v[26:27], v[38:39], v[16:17] op_sel_hi:[1,0,1] neg_lo:[0,0,1] neg_hi:[0,0,1]
	v_add_f32_e32 v27, v10, v32
	v_pk_add_f32 v[24:25], v[20:21], v[22:23]
	v_mov_b32_e32 v10, v20
	v_mov_b32_e32 v44, v22
	v_sub_f32_e32 v33, v34, v35
	v_fma_f32 v36, -0.5, v18, v12
	v_add_f32_e32 v12, v6, v20
	v_pk_fma_f32 v[6:7], -0.5, v[24:25], v[6:7] op_sel_hi:[0,1,1]
	v_pk_add_f32 v[24:25], v[10:11], v[44:45] neg_lo:[0,1] neg_hi:[0,1]
	v_fmamk_f32 v20, v33, 0xbf5db3d7, v36
	v_fmac_f32_e32 v36, 0x3f5db3d7, v33
	v_mov_b32_e32 v18, v25
	ds_write2_b32 v30, v27, v20 offset1:2
	ds_write_b32 v30, v36 offset:16
	v_pk_add_f32 v[36:37], v[18:19], v[16:17] neg_lo:[0,1] neg_hi:[0,1]
	v_add_f32_e32 v13, v13, v21
	v_pk_mul_f32 v[38:39], v[36:37], s[4:5] op_sel_hi:[1,0]
	v_mov_b32_e32 v26, v22
	v_add_f32_e32 v22, v13, v23
	v_mov_b32_e32 v13, v6
	v_mov_b32_e32 v27, v38
	v_pk_fma_f32 v[10:11], v[36:37], s[4:5], v[6:7] op_sel_hi:[1,0,1] neg_lo:[1,0,0] neg_hi:[1,0,0]
	v_pk_fma_f32 v[6:7], v[36:37], s[4:5], v[6:7] op_sel_hi:[1,0,1]
	v_pk_add_f32 v[12:13], v[12:13], v[26:27]
	ds_write2_b32 v29, v22, v11 offset1:2
	ds_write_b32 v29, v7 offset:16
	s_and_saveexec_b64 s[4:5], s[2:3]
	s_xor_b64 s[4:5], exec, s[4:5]
	s_or_saveexec_b64 s[4:5], s[4:5]
	v_lshrrev_b32_e32 v33, 1, v8
	s_xor_b64 exec, exec, s[4:5]
	s_cbranch_execz .LBB0_23
; %bb.22:
	v_mul_u32_u24_e32 v6, 6, v33
	v_or_b32_e32 v6, v6, v28
	v_lshl_add_u32 v6, v6, 2, 0
	ds_write2_b32 v6, v12, v10 offset1:2
	ds_write_b32 v6, v13 offset:16
.LBB0_23:
	s_or_b64 exec, exec, s[4:5]
	s_waitcnt lgkmcnt(0)
	s_barrier
	ds_read_b32 v6, v3
	ds_read_b32 v27, v3 offset:1176
	ds_read_b32 v22, v3 offset:2352
	;; [unrolled: 1-line block ×4, first 2 shown]
	s_movk_i32 s4, 0x54
	v_cmp_gt_u32_e32 vcc, s4, v4
                                        ; implicit-def: $vgpr26
	s_and_saveexec_b64 s[4:5], vcc
	s_cbranch_execz .LBB0_25
; %bb.24:
	ds_read_b32 v7, v3 offset:840
	ds_read_b32 v12, v3 offset:2016
	;; [unrolled: 1-line block ×5, first 2 shown]
.LBB0_25:
	s_or_b64 exec, exec, s[4:5]
	s_mov_b32 s4, 0x3f5db3d7
	v_mov_b32_e32 v8, 0x3f5db3d7
	v_add_f32_e32 v38, v14, v34
	v_add_f32_e32 v34, v34, v35
	v_mov_b32_e32 v36, v9
	v_add_f32_e32 v38, v38, v35
	v_fma_f32 v14, -0.5, v34, v14
	v_pk_mul_f32 v[34:35], v[24:25], s[4:5]
	v_pk_add_f32 v[8:9], v[8:9], v[24:25]
	v_mov_b32_e32 v37, v15
	v_sub_f32_e32 v31, v31, v32
	v_mov_b32_e32 v35, v9
	v_pk_add_f32 v[8:9], v[18:19], v[16:17]
	v_fmamk_f32 v32, v31, 0x3f5db3d7, v14
	v_fmamk_f32 v31, v31, 0xbf5db3d7, v14
	v_add_f32_e32 v14, v15, v19
	v_sub_f32_e32 v15, v21, v23
	v_pk_fma_f32 v[8:9], -0.5, v[8:9], v[36:37] op_sel_hi:[0,1,1]
	v_mul_f32_e32 v21, 0x3f5db3d7, v15
	v_add_f32_e32 v23, v14, v17
	v_fmamk_f32 v17, v15, 0x3f5db3d7, v9
	v_mov_b32_e32 v14, v8
	v_mov_b32_e32 v15, v16
	v_pk_add_f32 v[14:15], v[34:35], v[14:15]
	v_mov_b32_e32 v35, v21
	v_pk_add_f32 v[8:9], v[8:9], v[34:35] neg_lo:[0,1] neg_hi:[0,1]
	s_waitcnt lgkmcnt(0)
	s_barrier
	ds_write2_b32 v30, v38, v32 offset1:2
	ds_write_b32 v30, v31 offset:16
	ds_write2_b32 v29, v23, v17 offset1:2
	ds_write_b32 v29, v9 offset:16
	s_and_saveexec_b64 s[4:5], s[2:3]
	s_xor_b64 s[2:3], exec, s[4:5]
; %bb.26:
                                        ; implicit-def: $vgpr33
                                        ; implicit-def: $vgpr28
; %bb.27:
	s_andn2_saveexec_b64 s[2:3], s[2:3]
	s_cbranch_execz .LBB0_29
; %bb.28:
	v_mul_u32_u24_e32 v16, 6, v33
	v_or_b32_e32 v16, v16, v28
	v_lshl_add_u32 v16, v16, 2, 0
	ds_write2_b32 v16, v15, v14 offset1:2
	ds_write_b32 v16, v8 offset:16
.LBB0_29:
	s_or_b64 exec, exec, s[2:3]
	s_waitcnt lgkmcnt(0)
	s_barrier
	ds_read_b32 v16, v3
	ds_read_b32 v31, v3 offset:1176
	ds_read_b32 v30, v3 offset:2352
	;; [unrolled: 1-line block ×4, first 2 shown]
                                        ; implicit-def: $vgpr28
	s_and_saveexec_b64 s[2:3], vcc
	s_cbranch_execz .LBB0_31
; %bb.30:
	ds_read_b32 v9, v3 offset:840
	ds_read_b32 v15, v3 offset:2016
	;; [unrolled: 1-line block ×5, first 2 shown]
.LBB0_31:
	s_or_b64 exec, exec, s[2:3]
	s_movk_i32 s2, 0xab
	v_mul_lo_u16_sdwa v17, v4, s2 dst_sel:DWORD dst_unused:UNUSED_PAD src0_sel:BYTE_0 src1_sel:DWORD
	v_lshrrev_b16_e32 v17, 10, v17
	v_mul_lo_u16_e32 v21, 6, v17
	v_sub_u16_e32 v21, v4, v21
	v_mov_b32_e32 v23, 5
	v_lshlrev_b32_sdwa v23, v23, v21 dst_sel:DWORD dst_unused:UNUSED_PAD src0_sel:DWORD src1_sel:BYTE_0
	s_mov_b32 s2, 0xaaab
	global_load_dwordx4 v[36:39], v23, s[8:9] offset:32
	global_load_dwordx4 v[40:43], v23, s[8:9] offset:48
	v_mul_u32_u24_sdwa v23, v5, s2 dst_sel:DWORD dst_unused:UNUSED_PAD src0_sel:WORD_0 src1_sel:DWORD
	v_lshrrev_b32_e32 v23, 18, v23
	v_mul_lo_u16_e32 v24, 6, v23
	v_sub_u16_e32 v52, v5, v24
	v_lshlrev_b32_e32 v5, 5, v52
	global_load_dwordx4 v[44:47], v5, s[8:9] offset:32
	global_load_dwordx4 v[48:51], v5, s[8:9] offset:48
	v_mov_b32_e32 v5, 2
	v_mul_u32_u24_e32 v24, 0x78, v17
	v_lshlrev_b32_sdwa v5, v5, v21 dst_sel:DWORD dst_unused:UNUSED_PAD src0_sel:DWORD src1_sel:BYTE_0
	v_mul_lo_u16_e32 v17, 30, v23
	v_add3_u32 v25, 0, v24, v5
	s_waitcnt lgkmcnt(0)
	s_barrier
	s_waitcnt vmcnt(3)
	v_mul_f32_e32 v33, v30, v39
	s_waitcnt vmcnt(2)
	v_mul_f32_e32 v34, v19, v41
	v_mul_f32_e32 v32, v31, v37
	;; [unrolled: 1-line block ×7, first 2 shown]
	s_waitcnt vmcnt(1)
	v_mul_f32_e32 v23, v14, v47
	v_fmac_f32_e32 v33, v22, v38
	v_fmac_f32_e32 v34, v20, v40
	v_mul_f32_e32 v21, v15, v45
	v_mul_f32_e32 v43, v12, v45
	;; [unrolled: 1-line block ×3, first 2 shown]
	s_waitcnt vmcnt(0)
	v_mul_f32_e32 v47, v13, v49
	v_mul_f32_e32 v29, v28, v51
	v_fmac_f32_e32 v32, v27, v36
	v_fma_f32 v5, v31, v36, -v5
	v_fmac_f32_e32 v35, v11, v42
	v_fma_f32 v11, v18, v42, -v41
	v_fmac_f32_e32 v23, v10, v46
	v_add_f32_e32 v10, v33, v34
	v_mul_f32_e32 v24, v8, v49
	v_mul_f32_e32 v49, v26, v51
	v_fma_f32 v27, v30, v38, -v37
	v_fma_f32 v30, v19, v40, -v39
	v_fmac_f32_e32 v21, v12, v44
	v_fma_f32 v20, v8, v48, -v47
	v_fmac_f32_e32 v29, v26, v50
	v_add_f32_e32 v8, v6, v32
	v_sub_f32_e32 v12, v5, v11
	v_add_f32_e32 v26, v32, v35
	v_fma_f32 v10, -0.5, v10, v6
	v_fma_f32 v18, v15, v44, -v43
	v_fma_f32 v19, v14, v46, -v45
	v_fmac_f32_e32 v24, v13, v48
	v_fma_f32 v22, v28, v50, -v49
	v_sub_f32_e32 v13, v27, v30
	v_sub_f32_e32 v14, v32, v33
	;; [unrolled: 1-line block ×5, first 2 shown]
	v_add_f32_e32 v8, v8, v33
	v_fmac_f32_e32 v6, -0.5, v26
	v_fmamk_f32 v26, v12, 0xbf737871, v10
	v_add_f32_e32 v14, v14, v15
	v_add_f32_e32 v15, v28, v31
	v_add_f32_e32 v8, v8, v34
	v_fmac_f32_e32 v10, 0x3f737871, v12
	v_fmamk_f32 v28, v13, 0x3f737871, v6
	v_fmac_f32_e32 v6, 0xbf737871, v13
	v_fmac_f32_e32 v26, 0xbf167918, v13
	v_add_f32_e32 v8, v8, v35
	v_fmac_f32_e32 v10, 0x3f167918, v13
	v_fmac_f32_e32 v28, 0xbf167918, v12
	;; [unrolled: 1-line block ×7, first 2 shown]
	ds_write2_b32 v25, v8, v26 offset1:6
	ds_write2_b32 v25, v28, v6 offset0:12 offset1:18
	ds_write_b32 v25, v10 offset:96
	v_lshlrev_b32_e32 v26, 2, v52
	s_and_saveexec_b64 s[2:3], vcc
	s_cbranch_execz .LBB0_33
; %bb.32:
	v_add_f32_e32 v10, v21, v29
	v_sub_f32_e32 v6, v23, v21
	v_sub_f32_e32 v8, v24, v29
	v_fma_f32 v10, -0.5, v10, v7
	v_sub_f32_e32 v12, v19, v20
	v_add_f32_e32 v6, v6, v8
	v_sub_f32_e32 v8, v18, v22
	v_fmamk_f32 v13, v12, 0xbf737871, v10
	v_fmac_f32_e32 v10, 0x3f737871, v12
	v_fmac_f32_e32 v13, 0x3f167918, v8
	;; [unrolled: 1-line block ×5, first 2 shown]
	v_sub_f32_e32 v6, v21, v23
	v_sub_f32_e32 v14, v29, v24
	v_add_f32_e32 v6, v6, v14
	v_add_f32_e32 v14, v23, v24
	v_fma_f32 v14, -0.5, v14, v7
	v_fmamk_f32 v15, v8, 0x3f737871, v14
	v_fmac_f32_e32 v14, 0xbf737871, v8
	v_fmac_f32_e32 v15, 0x3f167918, v12
	;; [unrolled: 1-line block ×5, first 2 shown]
	v_add_f32_e32 v6, v7, v21
	v_add_f32_e32 v6, v6, v23
	;; [unrolled: 1-line block ×3, first 2 shown]
	v_lshlrev_b32_e32 v7, 2, v17
	v_add_f32_e32 v6, v6, v29
	v_add3_u32 v7, 0, v26, v7
	ds_write2_b32 v7, v6, v14 offset1:6
	ds_write2_b32 v7, v10, v13 offset0:12 offset1:18
	ds_write_b32 v7, v15 offset:96
.LBB0_33:
	s_or_b64 exec, exec, s[2:3]
	v_add_f32_e32 v6, v16, v5
	v_add_f32_e32 v6, v6, v27
	;; [unrolled: 1-line block ×5, first 2 shown]
	v_fma_f32 v31, -0.5, v6, v16
	v_sub_f32_e32 v6, v32, v35
	v_fmamk_f32 v32, v6, 0x3f737871, v31
	v_sub_f32_e32 v7, v33, v34
	v_sub_f32_e32 v8, v5, v27
	;; [unrolled: 1-line block ×3, first 2 shown]
	v_fmac_f32_e32 v31, 0xbf737871, v6
	v_fmac_f32_e32 v32, 0x3f167918, v7
	v_add_f32_e32 v8, v8, v10
	v_fmac_f32_e32 v31, 0xbf167918, v7
	v_fmac_f32_e32 v32, 0x3e9e377a, v8
	;; [unrolled: 1-line block ×3, first 2 shown]
	v_add_f32_e32 v8, v5, v11
	v_fmac_f32_e32 v16, -0.5, v8
	v_fmamk_f32 v33, v7, 0xbf737871, v16
	v_sub_f32_e32 v5, v27, v5
	v_sub_f32_e32 v8, v30, v11
	v_fmac_f32_e32 v16, 0x3f737871, v7
	v_fmac_f32_e32 v33, 0x3f167918, v6
	v_add_f32_e32 v5, v5, v8
	v_fmac_f32_e32 v16, 0xbf167918, v6
	v_lshl_add_u32 v14, v4, 2, 0
	v_fmac_f32_e32 v33, 0x3e9e377a, v5
	v_fmac_f32_e32 v16, 0x3e9e377a, v5
	v_add_u32_e32 v15, 0x600, v14
	v_add_u32_e32 v5, 0xd00, v3
	s_waitcnt lgkmcnt(0)
	s_barrier
	ds_read2_b32 v[6:7], v3 offset1:210
	ds_read2_b32 v[12:13], v15 offset0:36 offset1:246
	ds_read2_b32 v[10:11], v5 offset0:8 offset1:218
	ds_read_b32 v8, v3 offset:5040
	s_waitcnt lgkmcnt(0)
	s_barrier
	ds_write2_b32 v25, v28, v32 offset1:6
	ds_write2_b32 v25, v33, v16 offset0:12 offset1:18
	ds_write_b32 v25, v31 offset:96
	s_and_saveexec_b64 s[2:3], vcc
	s_cbranch_execz .LBB0_35
; %bb.34:
	v_add_f32_e32 v25, v19, v20
	v_fma_f32 v25, -0.5, v25, v9
	v_sub_f32_e32 v21, v21, v29
	v_fmamk_f32 v27, v21, 0x3f737871, v25
	v_sub_f32_e32 v23, v23, v24
	v_sub_f32_e32 v24, v18, v19
	;; [unrolled: 1-line block ×3, first 2 shown]
	v_fmac_f32_e32 v25, 0xbf737871, v21
	v_fmac_f32_e32 v27, 0x3f167918, v23
	v_add_f32_e32 v24, v24, v28
	v_fmac_f32_e32 v25, 0xbf167918, v23
	v_add_f32_e32 v16, v9, v18
	v_fmac_f32_e32 v27, 0x3e9e377a, v24
	v_fmac_f32_e32 v25, 0x3e9e377a, v24
	v_add_f32_e32 v24, v18, v22
	v_add_f32_e32 v16, v16, v19
	v_fmac_f32_e32 v9, -0.5, v24
	v_add_f32_e32 v16, v16, v20
	v_fmamk_f32 v24, v23, 0xbf737871, v9
	v_sub_f32_e32 v18, v19, v18
	v_sub_f32_e32 v19, v20, v22
	v_fmac_f32_e32 v9, 0x3f737871, v23
	v_lshlrev_b32_e32 v17, 2, v17
	v_add_f32_e32 v16, v16, v22
	v_fmac_f32_e32 v24, 0x3f167918, v21
	v_add_f32_e32 v18, v18, v19
	v_fmac_f32_e32 v9, 0xbf167918, v21
	v_add3_u32 v17, 0, v26, v17
	v_fmac_f32_e32 v24, 0x3e9e377a, v18
	v_fmac_f32_e32 v9, 0x3e9e377a, v18
	ds_write2_b32 v17, v16, v27 offset1:6
	ds_write2_b32 v17, v24, v9 offset0:12 offset1:18
	ds_write_b32 v17, v25 offset:96
.LBB0_35:
	s_or_b64 exec, exec, s[2:3]
	s_movk_i32 s2, 0x89
	v_mul_lo_u16_sdwa v9, v4, s2 dst_sel:DWORD dst_unused:UNUSED_PAD src0_sel:BYTE_0 src1_sel:DWORD
	v_lshrrev_b16_e32 v9, 12, v9
	v_mul_lo_u16_e32 v16, 30, v9
	v_sub_u16_e32 v34, v4, v16
	v_mov_b32_e32 v16, 6
	v_mul_u32_u24_sdwa v16, v34, v16 dst_sel:DWORD dst_unused:UNUSED_PAD src0_sel:BYTE_0 src1_sel:DWORD
	v_lshlrev_b32_e32 v28, 3, v16
	s_waitcnt lgkmcnt(0)
	s_barrier
	global_load_dwordx4 v[16:19], v28, s[8:9] offset:224
	global_load_dwordx4 v[20:23], v28, s[8:9] offset:240
	global_load_dwordx4 v[24:27], v28, s[8:9] offset:256
	ds_read2_b32 v[28:29], v3 offset1:210
	ds_read2_b32 v[30:31], v15 offset0:36 offset1:246
	ds_read2_b32 v[32:33], v5 offset0:8 offset1:218
	ds_read_b32 v35, v3 offset:5040
	s_mov_b32 s4, 0x3f3bfb3b
	s_mov_b32 s3, 0xbf3bfb3b
	;; [unrolled: 1-line block ×3, first 2 shown]
	v_mul_u32_u24_e32 v9, 0x348, v9
	s_waitcnt lgkmcnt(0)
	s_barrier
	s_mov_b32 s6, 0x3f4a47b2
	s_mov_b32 s12, 0xbeae86e6
	;; [unrolled: 1-line block ×6, first 2 shown]
	s_waitcnt vmcnt(2)
	v_mul_f32_e32 v36, v29, v17
	v_mul_f32_e32 v17, v7, v17
	v_mul_f32_e32 v37, v30, v19
	v_mul_f32_e32 v19, v12, v19
	s_waitcnt vmcnt(1)
	v_mul_f32_e32 v38, v31, v21
	v_mul_f32_e32 v21, v13, v21
	v_mul_f32_e32 v39, v32, v23
	v_mul_f32_e32 v23, v10, v23
	;; [unrolled: 5-line block ×3, first 2 shown]
	v_fmac_f32_e32 v36, v7, v16
	v_fma_f32 v7, v29, v16, -v17
	v_fmac_f32_e32 v37, v12, v18
	v_fma_f32 v12, v30, v18, -v19
	;; [unrolled: 2-line block ×6, first 2 shown]
	v_add_f32_e32 v16, v36, v41
	v_add_f32_e32 v17, v7, v8
	v_sub_f32_e32 v7, v7, v8
	v_add_f32_e32 v8, v37, v40
	v_add_f32_e32 v19, v12, v11
	v_sub_f32_e32 v11, v12, v11
	;; [unrolled: 3-line block ×3, first 2 shown]
	v_sub_f32_e32 v20, v37, v40
	v_sub_f32_e32 v22, v39, v38
	;; [unrolled: 1-line block ×3, first 2 shown]
	v_add_f32_e32 v13, v8, v16
	v_add_f32_e32 v23, v19, v17
	v_sub_f32_e32 v24, v8, v16
	v_sub_f32_e32 v25, v19, v17
	;; [unrolled: 1-line block ×6, first 2 shown]
	v_add_f32_e32 v26, v22, v20
	v_add_f32_e32 v27, v10, v11
	v_sub_f32_e32 v29, v22, v20
	v_sub_f32_e32 v30, v10, v11
	;; [unrolled: 1-line block ×4, first 2 shown]
	v_add_f32_e32 v12, v12, v13
	v_add_f32_e32 v13, v21, v23
	v_mul_f32_e32 v16, 0x3f4a47b2, v16
	v_mul_f32_e32 v17, 0x3f4a47b2, v17
	;; [unrolled: 1-line block ×3, first 2 shown]
	v_sub_f32_e32 v22, v18, v22
	v_sub_f32_e32 v10, v7, v10
	v_add_f32_e32 v18, v26, v18
	v_add_f32_e32 v7, v27, v7
	v_mul_f32_e32 v26, 0x3f08b237, v29
	v_mul_f32_e32 v27, 0x3f08b237, v30
	;; [unrolled: 1-line block ×4, first 2 shown]
	v_add_f32_e32 v6, v6, v12
	v_add_f32_e32 v28, v28, v13
	v_fma_f32 v21, v24, s4, -v21
	v_fma_f32 v24, v24, s3, -v16
	v_fmac_f32_e32 v16, 0x3d64c772, v8
	v_fma_f32 v8, v25, s3, -v17
	s_mov_b32 s3, 0x3eae86e6
	v_mul_f32_e32 v23, 0x3d64c772, v19
	v_fmamk_f32 v12, v12, 0xbf955555, v6
	v_fmamk_f32 v13, v13, 0xbf955555, v28
	v_fmac_f32_e32 v17, 0x3d64c772, v19
	v_fma_f32 v19, v20, s2, -v26
	v_fmac_f32_e32 v26, 0xbeae86e6, v22
	v_fma_f32 v11, v11, s2, -v27
	;; [unrolled: 2-line block ×3, first 2 shown]
	v_fma_f32 v10, v10, s3, -v30
	v_fma_f32 v23, v25, s4, -v23
	v_add_f32_e32 v16, v16, v12
	v_add_f32_e32 v17, v17, v13
	v_add_f32_e32 v21, v21, v12
	v_add_f32_e32 v12, v24, v12
	v_add_f32_e32 v8, v8, v13
	v_fmac_f32_e32 v26, 0xbee1c552, v18
	v_fmac_f32_e32 v27, 0xbee1c552, v7
	;; [unrolled: 1-line block ×4, first 2 shown]
	v_add_f32_e32 v22, v23, v13
	v_fmac_f32_e32 v19, 0xbee1c552, v18
	v_fmac_f32_e32 v11, 0xbee1c552, v7
	v_add_f32_e32 v7, v27, v16
	v_sub_f32_e32 v13, v17, v26
	v_add_f32_e32 v18, v10, v12
	v_sub_f32_e32 v23, v8, v20
	v_sub_f32_e32 v10, v12, v10
	v_add_f32_e32 v12, v20, v8
	v_sub_f32_e32 v8, v16, v27
	v_add_f32_e32 v16, v26, v17
	v_mov_b32_e32 v17, 2
	v_lshlrev_b32_sdwa v17, v17, v34 dst_sel:DWORD dst_unused:UNUSED_PAD src0_sel:DWORD src1_sel:BYTE_0
	v_sub_f32_e32 v24, v21, v11
	v_add_f32_e32 v11, v11, v21
	v_add3_u32 v17, 0, v9, v17
	ds_write2_b32 v17, v6, v7 offset1:30
	ds_write2_b32 v17, v18, v24 offset0:60 offset1:90
	ds_write2_b32 v17, v11, v10 offset0:120 offset1:150
	ds_write_b32 v17, v8 offset:720
	s_waitcnt lgkmcnt(0)
	s_barrier
	ds_read2_b32 v[8:9], v3 offset1:210
	ds_read2_b32 v[10:11], v15 offset0:36 offset1:246
	ds_read2_b32 v[6:7], v5 offset0:8 offset1:218
	ds_read_b32 v5, v3 offset:5040
	v_add_f32_e32 v25, v19, v22
	v_sub_f32_e32 v19, v22, v19
	s_waitcnt lgkmcnt(0)
	s_barrier
	ds_write2_b32 v17, v28, v13 offset1:30
	ds_write2_b32 v17, v23, v25 offset0:60 offset1:90
	ds_write2_b32 v17, v19, v12 offset0:120 offset1:150
	ds_write_b32 v17, v16 offset:720
	s_waitcnt lgkmcnt(0)
	s_barrier
	s_and_saveexec_b64 s[16:17], s[0:1]
	s_cbranch_execz .LBB0_37
; %bb.36:
	v_mul_u32_u24_e32 v4, 6, v4
	v_lshlrev_b32_e32 v4, 3, v4
	global_load_dwordx4 v[16:19], v4, s[8:9] offset:1680
	global_load_dwordx4 v[20:23], v4, s[8:9] offset:1664
	;; [unrolled: 1-line block ×3, first 2 shown]
	v_add_u32_e32 v14, 0x600, v14
	ds_read2_b32 v[12:13], v3 offset1:210
	ds_read_b32 v15, v3 offset:5040
	v_add_u32_e32 v29, 0xd00, v3
	ds_read2_b32 v[30:31], v14 offset0:36 offset1:246
	ds_read2_b32 v[32:33], v29 offset0:8 offset1:218
	v_mov_b32_e32 v3, 0
	v_lshl_add_u64 v[0:1], v[2:3], 3, v[0:1]
	s_waitcnt lgkmcnt(3)
	v_mov_b32_e32 v29, v12
	s_waitcnt lgkmcnt(1)
	v_mov_b32_e32 v2, v31
	v_mov_b32_e32 v14, v31
	;; [unrolled: 1-line block ×4, first 2 shown]
	s_mov_b32 s0, s13
	s_mov_b32 s1, s12
	s_waitcnt vmcnt(2)
	v_mul_f32_e32 v36, v31, v17
	s_waitcnt vmcnt(1)
	v_mul_f32_e32 v12, v10, v22
	;; [unrolled: 2-line block ×3, first 2 shown]
	v_mul_f32_e32 v3, v5, v27
	v_mul_f32_e32 v37, v9, v21
	v_mul_f32_e32 v39, v7, v25
	v_mul_f32_e32 v46, v10, v23
	v_mov_b32_e32 v40, v17
	v_mov_b32_e32 v41, v26
	;; [unrolled: 1-line block ×5, first 2 shown]
	v_fmac_f32_e32 v12, v30, v23
	s_waitcnt lgkmcnt(0)
	v_fmac_f32_e32 v31, v33, v25
	v_mul_f32_e32 v8, v32, v19
	v_mul_f32_e32 v34, v6, v18
	;; [unrolled: 1-line block ×3, first 2 shown]
	v_mov_b32_e32 v10, v16
	v_mov_b32_e32 v11, v27
	;; [unrolled: 1-line block ×4, first 2 shown]
	v_fma_f32 v35, v15, v26, -v3
	v_fma_f32 v9, v13, v20, -v37
	;; [unrolled: 1-line block ×4, first 2 shown]
	v_pk_mul_f32 v[4:5], v[4:5], v[40:41]
	v_mov_b32_e32 v33, v13
	v_pk_mul_f32 v[6:7], v[6:7], v[44:45]
	v_sub_f32_e32 v3, v12, v31
	v_sub_f32_e32 v20, v9, v35
	v_pk_add_f32 v[8:9], v[8:9], v[34:35]
	v_pk_add_f32 v[22:23], v[36:37], v[38:39]
	v_pk_fma_f32 v[16:17], v[2:3], v[16:17], v[4:5] neg_lo:[0,0,1] neg_hi:[0,0,1]
	v_pk_fma_f32 v[4:5], v[14:15], v[10:11], v[4:5]
	v_pk_fma_f32 v[10:11], v[32:33], v[18:19], v[6:7] neg_lo:[0,0,1] neg_hi:[0,0,1]
	v_pk_fma_f32 v[6:7], v[32:33], v[42:43], v[6:7]
	v_mov_b32_e32 v4, v37
	v_mov_b32_e32 v6, v39
	v_mov_b32_e32 v17, v5
	v_mov_b32_e32 v11, v7
	v_mov_b32_e32 v5, v8
	v_mov_b32_e32 v7, v22
	v_mov_b32_e32 v19, v10
	v_pk_add_f32 v[24:25], v[10:11], v[16:17]
	v_pk_add_f32 v[10:11], v[10:11], v[16:17] neg_lo:[0,1] neg_hi:[0,1]
	v_pk_add_f32 v[4:5], v[4:5], v[6:7] neg_lo:[0,1] neg_hi:[0,1]
	v_add_f32_e32 v12, v12, v31
	v_mov_b32_e32 v13, v16
	v_mov_b32_e32 v21, v5
	;; [unrolled: 1-line block ×4, first 2 shown]
	v_pk_add_f32 v[14:15], v[8:9], v[22:23]
	v_mov_b32_e32 v6, v10
	v_pk_add_f32 v[16:17], v[10:11], v[4:5] neg_lo:[0,1] neg_hi:[0,1]
	v_pk_add_f32 v[26:27], v[20:21], v[2:3] neg_lo:[0,1] neg_hi:[0,1]
	v_mov_b32_e32 v21, v11
	v_pk_add_f32 v[10:11], v[18:19], v[12:13]
	v_pk_mul_f32 v[18:19], v[26:27], s[12:13]
	v_pk_add_f32 v[26:27], v[10:11], v[14:15]
	v_mov_b32_e32 v10, v25
	v_mov_b32_e32 v15, v23
	;; [unrolled: 1-line block ×4, first 2 shown]
	v_pk_add_f32 v[30:31], v[10:11], v[14:15] neg_lo:[0,1] neg_hi:[0,1]
	v_mov_b32_e32 v15, v9
	v_mov_b32_e32 v13, v11
	v_pk_mul_f32 v[4:5], v[16:17], s[0:1]
	v_pk_add_f32 v[6:7], v[6:7], v[2:3]
	v_pk_fma_f32 v[16:17], v[16:17], s[0:1], v[18:19]
	v_pk_add_f32 v[28:29], v[28:29], v[26:27]
	v_pk_mul_f32 v[30:31], v[30:31], s[6:7]
	v_pk_add_f32 v[10:11], v[14:15], v[12:13] neg_lo:[0,1] neg_hi:[0,1]
	s_mov_b32 s0, s7
	s_mov_b32 s1, s6
	v_pk_add_f32 v[6:7], v[20:21], v[6:7]
	v_pk_mul_f32 v[14:15], v[10:11], s[0:1]
	v_pk_fma_f32 v[10:11], v[10:11], s[0:1], v[30:31]
	v_pk_fma_f32 v[26:27], v[26:27], s[10:11], v[28:29] op_sel_hi:[1,0,1]
	v_pk_fma_f32 v[16:17], v[6:7], s[14:15], v[16:17] op_sel_hi:[1,0,1]
	v_pk_add_f32 v[10:11], v[10:11], v[26:27]
	v_mov_b32_e32 v13, v23
	v_pk_add_f32 v[32:33], v[10:11], v[16:17]
	v_pk_add_f32 v[10:11], v[10:11], v[16:17] neg_lo:[0,1] neg_hi:[0,1]
	v_mov_b32_e32 v16, v32
	v_mov_b32_e32 v17, v11
	;; [unrolled: 1-line block ×3, first 2 shown]
	global_store_dwordx2 v[0:1], v[16:17], off offset:1680
	v_pk_add_f32 v[8:9], v[12:13], v[8:9] neg_lo:[0,1] neg_hi:[0,1]
	v_pk_add_f32 v[2:3], v[2:3], v[20:21] neg_lo:[0,1] neg_hi:[0,1]
	v_mov_b32_e32 v12, v18
	v_mov_b32_e32 v13, v5
	;; [unrolled: 1-line block ×4, first 2 shown]
	v_pk_fma_f32 v[12:13], v[2:3], s[2:3], v[12:13] op_sel_hi:[1,0,1] neg_lo:[1,0,1] neg_hi:[1,0,1]
	v_pk_fma_f32 v[16:17], v[8:9], s[4:5], v[16:17] op_sel_hi:[1,0,1] neg_lo:[1,0,1] neg_hi:[1,0,1]
	v_pk_fma_f32 v[12:13], v[6:7], s[14:15], v[12:13] op_sel_hi:[1,0,1]
	v_pk_add_f32 v[16:17], v[16:17], v[26:27]
	v_mov_b32_e32 v5, v19
	v_mov_b32_e32 v15, v31
	s_movk_i32 s0, 0x1000
	v_pk_add_f32 v[20:21], v[16:17], v[12:13]
	v_pk_add_f32 v[12:13], v[16:17], v[12:13] neg_lo:[0,1] neg_hi:[0,1]
	v_pk_fma_f32 v[2:3], v[2:3], s[2:3], v[4:5] op_sel_hi:[1,0,1] neg_lo:[0,0,1] neg_hi:[0,0,1]
	v_pk_fma_f32 v[4:5], v[8:9], s[4:5], v[14:15] op_sel_hi:[1,0,1] neg_lo:[0,0,1] neg_hi:[0,0,1]
	v_add_co_u32_e32 v8, vcc, s0, v0
	v_mov_b32_e32 v16, v20
	v_mov_b32_e32 v17, v13
	v_pk_fma_f32 v[2:3], v[6:7], s[14:15], v[2:3] op_sel_hi:[1,0,1]
	v_pk_add_f32 v[4:5], v[4:5], v[26:27]
	v_addc_co_u32_e32 v9, vcc, 0, v1, vcc
	global_store_dwordx2 v[0:1], v[28:29], off
	global_store_dwordx2 v[0:1], v[16:17], off offset:3360
	v_pk_add_f32 v[6:7], v[4:5], v[2:3] neg_lo:[0,1] neg_hi:[0,1]
	v_pk_add_f32 v[2:3], v[4:5], v[2:3]
	v_add_co_u32_e32 v0, vcc, 0x2000, v0
	v_mov_b32_e32 v4, v6
	v_mov_b32_e32 v5, v3
	;; [unrolled: 1-line block ×4, first 2 shown]
	v_addc_co_u32_e32 v1, vcc, 0, v1, vcc
	v_mov_b32_e32 v11, v33
	global_store_dwordx2 v[8:9], v[4:5], off offset:944
	global_store_dwordx2 v[8:9], v[2:3], off offset:2624
	;; [unrolled: 1-line block ×4, first 2 shown]
.LBB0_37:
	s_endpgm
	.section	.rodata,"a",@progbits
	.p2align	6, 0x0
	.amdhsa_kernel fft_rtc_back_len1470_factors_2_3_5_7_7_wgs_210_tpt_210_halfLds_sp_ip_CI_unitstride_sbrr_dirReg
		.amdhsa_group_segment_fixed_size 0
		.amdhsa_private_segment_fixed_size 0
		.amdhsa_kernarg_size 88
		.amdhsa_user_sgpr_count 2
		.amdhsa_user_sgpr_dispatch_ptr 0
		.amdhsa_user_sgpr_queue_ptr 0
		.amdhsa_user_sgpr_kernarg_segment_ptr 1
		.amdhsa_user_sgpr_dispatch_id 0
		.amdhsa_user_sgpr_kernarg_preload_length 0
		.amdhsa_user_sgpr_kernarg_preload_offset 0
		.amdhsa_user_sgpr_private_segment_size 0
		.amdhsa_uses_dynamic_stack 0
		.amdhsa_enable_private_segment 0
		.amdhsa_system_sgpr_workgroup_id_x 1
		.amdhsa_system_sgpr_workgroup_id_y 0
		.amdhsa_system_sgpr_workgroup_id_z 0
		.amdhsa_system_sgpr_workgroup_info 0
		.amdhsa_system_vgpr_workitem_id 0
		.amdhsa_next_free_vgpr 53
		.amdhsa_next_free_sgpr 22
		.amdhsa_accum_offset 56
		.amdhsa_reserve_vcc 1
		.amdhsa_float_round_mode_32 0
		.amdhsa_float_round_mode_16_64 0
		.amdhsa_float_denorm_mode_32 3
		.amdhsa_float_denorm_mode_16_64 3
		.amdhsa_dx10_clamp 1
		.amdhsa_ieee_mode 1
		.amdhsa_fp16_overflow 0
		.amdhsa_tg_split 0
		.amdhsa_exception_fp_ieee_invalid_op 0
		.amdhsa_exception_fp_denorm_src 0
		.amdhsa_exception_fp_ieee_div_zero 0
		.amdhsa_exception_fp_ieee_overflow 0
		.amdhsa_exception_fp_ieee_underflow 0
		.amdhsa_exception_fp_ieee_inexact 0
		.amdhsa_exception_int_div_zero 0
	.end_amdhsa_kernel
	.text
.Lfunc_end0:
	.size	fft_rtc_back_len1470_factors_2_3_5_7_7_wgs_210_tpt_210_halfLds_sp_ip_CI_unitstride_sbrr_dirReg, .Lfunc_end0-fft_rtc_back_len1470_factors_2_3_5_7_7_wgs_210_tpt_210_halfLds_sp_ip_CI_unitstride_sbrr_dirReg
                                        ; -- End function
	.section	.AMDGPU.csdata,"",@progbits
; Kernel info:
; codeLenInByte = 5792
; NumSgprs: 28
; NumVgprs: 53
; NumAgprs: 0
; TotalNumVgprs: 53
; ScratchSize: 0
; MemoryBound: 0
; FloatMode: 240
; IeeeMode: 1
; LDSByteSize: 0 bytes/workgroup (compile time only)
; SGPRBlocks: 3
; VGPRBlocks: 6
; NumSGPRsForWavesPerEU: 28
; NumVGPRsForWavesPerEU: 53
; AccumOffset: 56
; Occupancy: 8
; WaveLimiterHint : 1
; COMPUTE_PGM_RSRC2:SCRATCH_EN: 0
; COMPUTE_PGM_RSRC2:USER_SGPR: 2
; COMPUTE_PGM_RSRC2:TRAP_HANDLER: 0
; COMPUTE_PGM_RSRC2:TGID_X_EN: 1
; COMPUTE_PGM_RSRC2:TGID_Y_EN: 0
; COMPUTE_PGM_RSRC2:TGID_Z_EN: 0
; COMPUTE_PGM_RSRC2:TIDIG_COMP_CNT: 0
; COMPUTE_PGM_RSRC3_GFX90A:ACCUM_OFFSET: 13
; COMPUTE_PGM_RSRC3_GFX90A:TG_SPLIT: 0
	.text
	.p2alignl 6, 3212836864
	.fill 256, 4, 3212836864
	.type	__hip_cuid_78720ebfacc234df,@object ; @__hip_cuid_78720ebfacc234df
	.section	.bss,"aw",@nobits
	.globl	__hip_cuid_78720ebfacc234df
__hip_cuid_78720ebfacc234df:
	.byte	0                               ; 0x0
	.size	__hip_cuid_78720ebfacc234df, 1

	.ident	"AMD clang version 19.0.0git (https://github.com/RadeonOpenCompute/llvm-project roc-6.4.0 25133 c7fe45cf4b819c5991fe208aaa96edf142730f1d)"
	.section	".note.GNU-stack","",@progbits
	.addrsig
	.addrsig_sym __hip_cuid_78720ebfacc234df
	.amdgpu_metadata
---
amdhsa.kernels:
  - .agpr_count:     0
    .args:
      - .actual_access:  read_only
        .address_space:  global
        .offset:         0
        .size:           8
        .value_kind:     global_buffer
      - .offset:         8
        .size:           8
        .value_kind:     by_value
      - .actual_access:  read_only
        .address_space:  global
        .offset:         16
        .size:           8
        .value_kind:     global_buffer
      - .actual_access:  read_only
        .address_space:  global
        .offset:         24
        .size:           8
        .value_kind:     global_buffer
      - .offset:         32
        .size:           8
        .value_kind:     by_value
      - .actual_access:  read_only
        .address_space:  global
        .offset:         40
        .size:           8
        .value_kind:     global_buffer
      - .actual_access:  read_only
        .address_space:  global
        .offset:         48
        .size:           8
        .value_kind:     global_buffer
      - .offset:         56
        .size:           4
        .value_kind:     by_value
      - .actual_access:  read_only
        .address_space:  global
        .offset:         64
        .size:           8
        .value_kind:     global_buffer
      - .actual_access:  read_only
        .address_space:  global
        .offset:         72
        .size:           8
        .value_kind:     global_buffer
      - .address_space:  global
        .offset:         80
        .size:           8
        .value_kind:     global_buffer
    .group_segment_fixed_size: 0
    .kernarg_segment_align: 8
    .kernarg_segment_size: 88
    .language:       OpenCL C
    .language_version:
      - 2
      - 0
    .max_flat_workgroup_size: 210
    .name:           fft_rtc_back_len1470_factors_2_3_5_7_7_wgs_210_tpt_210_halfLds_sp_ip_CI_unitstride_sbrr_dirReg
    .private_segment_fixed_size: 0
    .sgpr_count:     28
    .sgpr_spill_count: 0
    .symbol:         fft_rtc_back_len1470_factors_2_3_5_7_7_wgs_210_tpt_210_halfLds_sp_ip_CI_unitstride_sbrr_dirReg.kd
    .uniform_work_group_size: 1
    .uses_dynamic_stack: false
    .vgpr_count:     53
    .vgpr_spill_count: 0
    .wavefront_size: 64
amdhsa.target:   amdgcn-amd-amdhsa--gfx950
amdhsa.version:
  - 1
  - 2
...

	.end_amdgpu_metadata
